;; amdgpu-corpus repo=ROCm/rocFFT kind=compiled arch=gfx1100 opt=O3
	.text
	.amdgcn_target "amdgcn-amd-amdhsa--gfx1100"
	.amdhsa_code_object_version 6
	.protected	fft_rtc_back_len49_factors_7_7_wgs_63_tpt_7_halfLds_dp_op_CI_CI_unitstride_sbrr_dirReg ; -- Begin function fft_rtc_back_len49_factors_7_7_wgs_63_tpt_7_halfLds_dp_op_CI_CI_unitstride_sbrr_dirReg
	.globl	fft_rtc_back_len49_factors_7_7_wgs_63_tpt_7_halfLds_dp_op_CI_CI_unitstride_sbrr_dirReg
	.p2align	8
	.type	fft_rtc_back_len49_factors_7_7_wgs_63_tpt_7_halfLds_dp_op_CI_CI_unitstride_sbrr_dirReg,@function
fft_rtc_back_len49_factors_7_7_wgs_63_tpt_7_halfLds_dp_op_CI_CI_unitstride_sbrr_dirReg: ; @fft_rtc_back_len49_factors_7_7_wgs_63_tpt_7_halfLds_dp_op_CI_CI_unitstride_sbrr_dirReg
; %bb.0:
	s_load_b128 s[8:11], s[0:1], 0x0
	v_mul_u32_u24_e32 v1, 0x2493, v0
	s_clause 0x1
	s_load_b128 s[4:7], s[0:1], 0x58
	s_load_b128 s[16:19], s[0:1], 0x18
	v_mov_b32_e32 v4, 0
	v_lshrrev_b32_e32 v2, 16, v1
	v_mov_b32_e32 v1, 0
	s_delay_alu instid0(VALU_DEP_2) | instskip(NEXT) | instid1(VALU_DEP_2)
	v_mad_u64_u32 v[32:33], null, s15, 9, v[2:3]
	v_mov_b32_e32 v33, v1
	s_delay_alu instid0(VALU_DEP_2) | instskip(SKIP_2) | instid1(VALU_DEP_2)
	v_dual_mov_b32 v5, 0 :: v_dual_mov_b32 v30, v32
	s_waitcnt lgkmcnt(0)
	v_cmp_lt_u64_e64 s2, s[10:11], 2
	v_dual_mov_b32 v29, v5 :: v_dual_mov_b32 v28, v4
	v_mov_b32_e32 v31, v33
	s_delay_alu instid0(VALU_DEP_3)
	s_and_b32 vcc_lo, exec_lo, s2
	s_cbranch_vccnz .LBB0_8
; %bb.1:
	s_load_b64 s[2:3], s[0:1], 0x10
	v_mov_b32_e32 v4, 0
	v_dual_mov_b32 v5, 0 :: v_dual_mov_b32 v6, v32
	s_add_u32 s12, s18, 8
	s_addc_u32 s13, s19, 0
	v_mov_b32_e32 v7, v33
	s_add_u32 s14, s16, 8
	v_dual_mov_b32 v29, v5 :: v_dual_mov_b32 v28, v4
	s_addc_u32 s15, s17, 0
	s_mov_b64 s[22:23], 1
	s_waitcnt lgkmcnt(0)
	s_add_u32 s20, s2, 8
	s_addc_u32 s21, s3, 0
.LBB0_2:                                ; =>This Inner Loop Header: Depth=1
	s_load_b64 s[24:25], s[20:21], 0x0
                                        ; implicit-def: $vgpr30_vgpr31
	s_mov_b32 s2, exec_lo
	s_waitcnt lgkmcnt(0)
	v_or_b32_e32 v2, s25, v7
	s_delay_alu instid0(VALU_DEP_1)
	v_cmpx_ne_u64_e32 0, v[1:2]
	s_xor_b32 s3, exec_lo, s2
	s_cbranch_execz .LBB0_4
; %bb.3:                                ;   in Loop: Header=BB0_2 Depth=1
	v_cvt_f32_u32_e32 v2, s24
	v_cvt_f32_u32_e32 v3, s25
	s_sub_u32 s2, 0, s24
	s_subb_u32 s26, 0, s25
	s_delay_alu instid0(VALU_DEP_1) | instskip(NEXT) | instid1(VALU_DEP_1)
	v_fmac_f32_e32 v2, 0x4f800000, v3
	v_rcp_f32_e32 v2, v2
	s_waitcnt_depctr 0xfff
	v_mul_f32_e32 v2, 0x5f7ffffc, v2
	s_delay_alu instid0(VALU_DEP_1) | instskip(NEXT) | instid1(VALU_DEP_1)
	v_mul_f32_e32 v3, 0x2f800000, v2
	v_trunc_f32_e32 v3, v3
	s_delay_alu instid0(VALU_DEP_1) | instskip(SKIP_1) | instid1(VALU_DEP_2)
	v_fmac_f32_e32 v2, 0xcf800000, v3
	v_cvt_u32_f32_e32 v3, v3
	v_cvt_u32_f32_e32 v2, v2
	s_delay_alu instid0(VALU_DEP_2) | instskip(NEXT) | instid1(VALU_DEP_2)
	v_mul_lo_u32 v8, s2, v3
	v_mul_hi_u32 v9, s2, v2
	v_mul_lo_u32 v10, s26, v2
	s_delay_alu instid0(VALU_DEP_2) | instskip(SKIP_1) | instid1(VALU_DEP_2)
	v_add_nc_u32_e32 v8, v9, v8
	v_mul_lo_u32 v9, s2, v2
	v_add_nc_u32_e32 v8, v8, v10
	s_delay_alu instid0(VALU_DEP_2) | instskip(NEXT) | instid1(VALU_DEP_2)
	v_mul_hi_u32 v10, v2, v9
	v_mul_lo_u32 v11, v2, v8
	v_mul_hi_u32 v12, v2, v8
	v_mul_hi_u32 v13, v3, v9
	v_mul_lo_u32 v9, v3, v9
	v_mul_hi_u32 v14, v3, v8
	v_mul_lo_u32 v8, v3, v8
	v_add_co_u32 v10, vcc_lo, v10, v11
	v_add_co_ci_u32_e32 v11, vcc_lo, 0, v12, vcc_lo
	s_delay_alu instid0(VALU_DEP_2) | instskip(NEXT) | instid1(VALU_DEP_2)
	v_add_co_u32 v9, vcc_lo, v10, v9
	v_add_co_ci_u32_e32 v9, vcc_lo, v11, v13, vcc_lo
	v_add_co_ci_u32_e32 v10, vcc_lo, 0, v14, vcc_lo
	s_delay_alu instid0(VALU_DEP_2) | instskip(NEXT) | instid1(VALU_DEP_2)
	v_add_co_u32 v8, vcc_lo, v9, v8
	v_add_co_ci_u32_e32 v9, vcc_lo, 0, v10, vcc_lo
	s_delay_alu instid0(VALU_DEP_2) | instskip(NEXT) | instid1(VALU_DEP_2)
	v_add_co_u32 v2, vcc_lo, v2, v8
	v_add_co_ci_u32_e32 v3, vcc_lo, v3, v9, vcc_lo
	s_delay_alu instid0(VALU_DEP_2) | instskip(SKIP_1) | instid1(VALU_DEP_3)
	v_mul_hi_u32 v8, s2, v2
	v_mul_lo_u32 v10, s26, v2
	v_mul_lo_u32 v9, s2, v3
	s_delay_alu instid0(VALU_DEP_1) | instskip(SKIP_1) | instid1(VALU_DEP_2)
	v_add_nc_u32_e32 v8, v8, v9
	v_mul_lo_u32 v9, s2, v2
	v_add_nc_u32_e32 v8, v8, v10
	s_delay_alu instid0(VALU_DEP_2) | instskip(NEXT) | instid1(VALU_DEP_2)
	v_mul_hi_u32 v10, v2, v9
	v_mul_lo_u32 v11, v2, v8
	v_mul_hi_u32 v12, v2, v8
	v_mul_hi_u32 v13, v3, v9
	v_mul_lo_u32 v9, v3, v9
	v_mul_hi_u32 v14, v3, v8
	v_mul_lo_u32 v8, v3, v8
	v_add_co_u32 v10, vcc_lo, v10, v11
	v_add_co_ci_u32_e32 v11, vcc_lo, 0, v12, vcc_lo
	s_delay_alu instid0(VALU_DEP_2) | instskip(NEXT) | instid1(VALU_DEP_2)
	v_add_co_u32 v9, vcc_lo, v10, v9
	v_add_co_ci_u32_e32 v9, vcc_lo, v11, v13, vcc_lo
	v_add_co_ci_u32_e32 v10, vcc_lo, 0, v14, vcc_lo
	s_delay_alu instid0(VALU_DEP_2) | instskip(NEXT) | instid1(VALU_DEP_2)
	v_add_co_u32 v8, vcc_lo, v9, v8
	v_add_co_ci_u32_e32 v9, vcc_lo, 0, v10, vcc_lo
	s_delay_alu instid0(VALU_DEP_2) | instskip(NEXT) | instid1(VALU_DEP_2)
	v_add_co_u32 v10, vcc_lo, v2, v8
	v_add_co_ci_u32_e32 v12, vcc_lo, v3, v9, vcc_lo
	s_delay_alu instid0(VALU_DEP_2) | instskip(SKIP_1) | instid1(VALU_DEP_3)
	v_mul_hi_u32 v13, v6, v10
	v_mad_u64_u32 v[8:9], null, v7, v10, 0
	v_mad_u64_u32 v[2:3], null, v6, v12, 0
	;; [unrolled: 1-line block ×3, first 2 shown]
	s_delay_alu instid0(VALU_DEP_2) | instskip(NEXT) | instid1(VALU_DEP_3)
	v_add_co_u32 v2, vcc_lo, v13, v2
	v_add_co_ci_u32_e32 v3, vcc_lo, 0, v3, vcc_lo
	s_delay_alu instid0(VALU_DEP_2) | instskip(NEXT) | instid1(VALU_DEP_2)
	v_add_co_u32 v2, vcc_lo, v2, v8
	v_add_co_ci_u32_e32 v2, vcc_lo, v3, v9, vcc_lo
	v_add_co_ci_u32_e32 v3, vcc_lo, 0, v11, vcc_lo
	s_delay_alu instid0(VALU_DEP_2) | instskip(NEXT) | instid1(VALU_DEP_2)
	v_add_co_u32 v8, vcc_lo, v2, v10
	v_add_co_ci_u32_e32 v9, vcc_lo, 0, v3, vcc_lo
	s_delay_alu instid0(VALU_DEP_2) | instskip(SKIP_1) | instid1(VALU_DEP_3)
	v_mul_lo_u32 v10, s25, v8
	v_mad_u64_u32 v[2:3], null, s24, v8, 0
	v_mul_lo_u32 v11, s24, v9
	s_delay_alu instid0(VALU_DEP_2) | instskip(NEXT) | instid1(VALU_DEP_2)
	v_sub_co_u32 v2, vcc_lo, v6, v2
	v_add3_u32 v3, v3, v11, v10
	s_delay_alu instid0(VALU_DEP_1) | instskip(NEXT) | instid1(VALU_DEP_1)
	v_sub_nc_u32_e32 v10, v7, v3
	v_subrev_co_ci_u32_e64 v10, s2, s25, v10, vcc_lo
	v_add_co_u32 v11, s2, v8, 2
	s_delay_alu instid0(VALU_DEP_1) | instskip(SKIP_3) | instid1(VALU_DEP_3)
	v_add_co_ci_u32_e64 v12, s2, 0, v9, s2
	v_sub_co_u32 v13, s2, v2, s24
	v_sub_co_ci_u32_e32 v3, vcc_lo, v7, v3, vcc_lo
	v_subrev_co_ci_u32_e64 v10, s2, 0, v10, s2
	v_cmp_le_u32_e32 vcc_lo, s24, v13
	s_delay_alu instid0(VALU_DEP_3) | instskip(SKIP_1) | instid1(VALU_DEP_4)
	v_cmp_eq_u32_e64 s2, s25, v3
	v_cndmask_b32_e64 v13, 0, -1, vcc_lo
	v_cmp_le_u32_e32 vcc_lo, s25, v10
	v_cndmask_b32_e64 v14, 0, -1, vcc_lo
	v_cmp_le_u32_e32 vcc_lo, s24, v2
	;; [unrolled: 2-line block ×3, first 2 shown]
	v_cndmask_b32_e64 v15, 0, -1, vcc_lo
	v_cmp_eq_u32_e32 vcc_lo, s25, v10
	s_delay_alu instid0(VALU_DEP_2) | instskip(SKIP_3) | instid1(VALU_DEP_3)
	v_cndmask_b32_e64 v2, v15, v2, s2
	v_cndmask_b32_e32 v10, v14, v13, vcc_lo
	v_add_co_u32 v13, vcc_lo, v8, 1
	v_add_co_ci_u32_e32 v14, vcc_lo, 0, v9, vcc_lo
	v_cmp_ne_u32_e32 vcc_lo, 0, v10
	s_delay_alu instid0(VALU_DEP_2) | instskip(SKIP_1) | instid1(VALU_DEP_2)
	v_dual_cndmask_b32 v3, v14, v12 :: v_dual_cndmask_b32 v10, v13, v11
	v_cmp_ne_u32_e32 vcc_lo, 0, v2
	v_dual_cndmask_b32 v31, v9, v3 :: v_dual_cndmask_b32 v30, v8, v10
.LBB0_4:                                ;   in Loop: Header=BB0_2 Depth=1
	s_and_not1_saveexec_b32 s2, s3
	s_cbranch_execz .LBB0_6
; %bb.5:                                ;   in Loop: Header=BB0_2 Depth=1
	v_cvt_f32_u32_e32 v2, s24
	s_sub_i32 s3, 0, s24
	v_mov_b32_e32 v31, v1
	s_delay_alu instid0(VALU_DEP_2) | instskip(SKIP_2) | instid1(VALU_DEP_1)
	v_rcp_iflag_f32_e32 v2, v2
	s_waitcnt_depctr 0xfff
	v_mul_f32_e32 v2, 0x4f7ffffe, v2
	v_cvt_u32_f32_e32 v2, v2
	s_delay_alu instid0(VALU_DEP_1) | instskip(NEXT) | instid1(VALU_DEP_1)
	v_mul_lo_u32 v3, s3, v2
	v_mul_hi_u32 v3, v2, v3
	s_delay_alu instid0(VALU_DEP_1) | instskip(NEXT) | instid1(VALU_DEP_1)
	v_add_nc_u32_e32 v2, v2, v3
	v_mul_hi_u32 v2, v6, v2
	s_delay_alu instid0(VALU_DEP_1) | instskip(SKIP_1) | instid1(VALU_DEP_2)
	v_mul_lo_u32 v3, v2, s24
	v_add_nc_u32_e32 v8, 1, v2
	v_sub_nc_u32_e32 v3, v6, v3
	s_delay_alu instid0(VALU_DEP_1) | instskip(SKIP_1) | instid1(VALU_DEP_2)
	v_subrev_nc_u32_e32 v9, s24, v3
	v_cmp_le_u32_e32 vcc_lo, s24, v3
	v_dual_cndmask_b32 v3, v3, v9 :: v_dual_cndmask_b32 v2, v2, v8
	s_delay_alu instid0(VALU_DEP_1) | instskip(NEXT) | instid1(VALU_DEP_2)
	v_cmp_le_u32_e32 vcc_lo, s24, v3
	v_add_nc_u32_e32 v8, 1, v2
	s_delay_alu instid0(VALU_DEP_1)
	v_cndmask_b32_e32 v30, v2, v8, vcc_lo
.LBB0_6:                                ;   in Loop: Header=BB0_2 Depth=1
	s_or_b32 exec_lo, exec_lo, s2
	s_delay_alu instid0(VALU_DEP_1) | instskip(NEXT) | instid1(VALU_DEP_2)
	v_mul_lo_u32 v8, v31, s24
	v_mul_lo_u32 v9, v30, s25
	s_load_b64 s[2:3], s[14:15], 0x0
	v_mad_u64_u32 v[2:3], null, v30, s24, 0
	s_load_b64 s[24:25], s[12:13], 0x0
	s_add_u32 s22, s22, 1
	s_addc_u32 s23, s23, 0
	s_add_u32 s12, s12, 8
	s_addc_u32 s13, s13, 0
	s_add_u32 s14, s14, 8
	s_delay_alu instid0(VALU_DEP_1) | instskip(SKIP_3) | instid1(VALU_DEP_2)
	v_add3_u32 v3, v3, v9, v8
	v_sub_co_u32 v8, vcc_lo, v6, v2
	s_addc_u32 s15, s15, 0
	s_add_u32 s20, s20, 8
	v_sub_co_ci_u32_e32 v6, vcc_lo, v7, v3, vcc_lo
	s_addc_u32 s21, s21, 0
	s_waitcnt lgkmcnt(0)
	s_delay_alu instid0(VALU_DEP_1)
	v_mul_lo_u32 v9, s2, v6
	v_mul_lo_u32 v10, s3, v8
	v_mad_u64_u32 v[2:3], null, s2, v8, v[4:5]
	v_mul_lo_u32 v11, s24, v6
	v_mul_lo_u32 v12, s25, v8
	v_mad_u64_u32 v[6:7], null, s24, v8, v[28:29]
	v_cmp_ge_u64_e64 s2, s[22:23], s[10:11]
	v_add3_u32 v5, v10, v3, v9
	v_mov_b32_e32 v4, v2
	s_delay_alu instid0(VALU_DEP_4)
	v_add3_u32 v29, v12, v7, v11
	v_mov_b32_e32 v28, v6
	s_and_b32 vcc_lo, exec_lo, s2
	s_cbranch_vccnz .LBB0_8
; %bb.7:                                ;   in Loop: Header=BB0_2 Depth=1
	v_dual_mov_b32 v6, v30 :: v_dual_mov_b32 v7, v31
	s_branch .LBB0_2
.LBB0_8:
	s_load_b64 s[0:1], s[0:1], 0x28
	v_mul_hi_u32 v1, 0x24924925, v0
	s_lshl_b64 s[2:3], s[10:11], 3
                                        ; implicit-def: $sgpr10_sgpr11
                                        ; implicit-def: $vgpr35
	s_delay_alu instid0(SALU_CYCLE_1) | instskip(SKIP_4) | instid1(VALU_DEP_1)
	s_add_u32 s12, s18, s2
	s_addc_u32 s13, s19, s3
	s_waitcnt lgkmcnt(0)
	v_cmp_gt_u64_e32 vcc_lo, s[0:1], v[30:31]
	v_cmp_le_u64_e64 s0, s[0:1], v[30:31]
	s_and_saveexec_b32 s1, s0
	s_delay_alu instid0(SALU_CYCLE_1)
	s_xor_b32 s0, exec_lo, s1
; %bb.9:
	v_mul_u32_u24_e32 v1, 7, v1
	s_mov_b64 s[10:11], 0
                                        ; implicit-def: $vgpr4_vgpr5
	s_delay_alu instid0(VALU_DEP_1)
	v_sub_nc_u32_e32 v35, v0, v1
                                        ; implicit-def: $vgpr1
                                        ; implicit-def: $vgpr0
; %bb.10:
	s_or_saveexec_b32 s1, s0
	v_dual_mov_b32 v34, s11 :: v_dual_mov_b32 v33, s10
                                        ; implicit-def: $vgpr26_vgpr27
                                        ; implicit-def: $vgpr22_vgpr23
                                        ; implicit-def: $vgpr18_vgpr19
                                        ; implicit-def: $vgpr14_vgpr15
                                        ; implicit-def: $vgpr10_vgpr11
                                        ; implicit-def: $vgpr6_vgpr7
                                        ; implicit-def: $vgpr2_vgpr3
	s_xor_b32 exec_lo, exec_lo, s1
	s_cbranch_execz .LBB0_12
; %bb.11:
	s_add_u32 s2, s16, s2
	s_addc_u32 s3, s17, s3
	v_mov_b32_e32 v36, 0
	s_load_b64 s[2:3], s[2:3], 0x0
	s_waitcnt lgkmcnt(0)
	v_mul_lo_u32 v6, s3, v30
	v_mul_lo_u32 v7, s2, v31
	v_mad_u64_u32 v[2:3], null, s2, v30, 0
	s_delay_alu instid0(VALU_DEP_1) | instskip(SKIP_1) | instid1(VALU_DEP_2)
	v_add3_u32 v3, v3, v7, v6
	v_mul_u32_u24_e32 v6, 7, v1
	v_lshlrev_b64 v[1:2], 4, v[2:3]
	v_lshlrev_b64 v[3:4], 4, v[4:5]
	s_delay_alu instid0(VALU_DEP_3) | instskip(NEXT) | instid1(VALU_DEP_3)
	v_sub_nc_u32_e32 v35, v0, v6
	v_add_co_u32 v0, s0, s4, v1
	s_delay_alu instid0(VALU_DEP_1) | instskip(NEXT) | instid1(VALU_DEP_3)
	v_add_co_ci_u32_e64 v1, s0, s5, v2, s0
	v_dual_mov_b32 v33, v35 :: v_dual_lshlrev_b32 v2, 4, v35
	s_delay_alu instid0(VALU_DEP_3) | instskip(NEXT) | instid1(VALU_DEP_1)
	v_add_co_u32 v0, s0, v0, v3
	v_add_co_ci_u32_e64 v1, s0, v1, v4, s0
	v_mov_b32_e32 v34, v36
	s_delay_alu instid0(VALU_DEP_3) | instskip(NEXT) | instid1(VALU_DEP_1)
	v_add_co_u32 v24, s0, v0, v2
	v_add_co_ci_u32_e64 v25, s0, 0, v1, s0
	s_clause 0x6
	global_load_b128 v[0:3], v[24:25], off
	global_load_b128 v[4:7], v[24:25], off offset:112
	global_load_b128 v[8:11], v[24:25], off offset:224
	;; [unrolled: 1-line block ×6, first 2 shown]
.LBB0_12:
	s_or_b32 exec_lo, exec_lo, s1
	s_waitcnt vmcnt(0)
	v_add_f64 v[36:37], v[24:25], v[4:5]
	v_add_f64 v[38:39], v[20:21], v[8:9]
	v_add_f64 v[40:41], v[26:27], v[6:7]
	v_add_f64 v[42:43], v[22:23], v[10:11]
	v_add_f64 v[10:11], v[10:11], -v[22:23]
	v_add_f64 v[22:23], v[16:17], v[12:13]
	v_add_f64 v[44:45], v[18:19], -v[14:15]
	v_add_f64 v[6:7], v[6:7], -v[26:27]
	;; [unrolled: 1-line block ×3, first 2 shown]
	v_add_f64 v[14:15], v[18:19], v[14:15]
	v_add_f64 v[12:13], v[16:17], -v[12:13]
	v_add_f64 v[4:5], v[4:5], -v[24:25]
	s_mov_b32 s2, 0x37e14327
	s_mov_b32 s10, 0xe976ee23
	;; [unrolled: 1-line block ×20, first 2 shown]
	s_load_b64 s[12:13], s[12:13], 0x0
	v_add_f64 v[26:27], v[38:39], v[36:37]
	v_add_f64 v[16:17], v[42:43], v[40:41]
	v_add_f64 v[18:19], v[36:37], -v[22:23]
	v_add_f64 v[20:21], v[44:45], -v[10:11]
	;; [unrolled: 1-line block ×3, first 2 shown]
	v_add_f64 v[10:11], v[44:45], v[10:11]
	v_add_f64 v[46:47], v[40:41], -v[14:15]
	v_add_f64 v[48:49], v[12:13], -v[8:9]
	v_add_f64 v[50:51], v[8:9], -v[4:5]
	v_add_f64 v[44:45], v[6:7], -v[44:45]
	v_add_f64 v[36:37], v[38:39], -v[36:37]
	v_add_f64 v[8:9], v[12:13], v[8:9]
	v_add_f64 v[12:13], v[4:5], -v[12:13]
	v_add_f64 v[40:41], v[42:43], -v[40:41]
	v_add_f64 v[26:27], v[22:23], v[26:27]
	v_add_f64 v[22:23], v[22:23], -v[38:39]
	v_add_f64 v[16:17], v[14:15], v[16:17]
	v_add_f64 v[14:15], v[14:15], -v[42:43]
	v_mul_f64 v[18:19], v[18:19], s[2:3]
	v_mul_f64 v[20:21], v[20:21], s[10:11]
	;; [unrolled: 1-line block ×3, first 2 shown]
	v_add_f64 v[6:7], v[10:11], v[6:7]
	v_mul_f64 v[46:47], v[46:47], s[2:3]
	v_mul_f64 v[48:49], v[48:49], s[10:11]
	;; [unrolled: 1-line block ×3, first 2 shown]
	v_add_f64 v[4:5], v[8:9], v[4:5]
	v_add_f64 v[0:1], v[0:1], v[26:27]
	v_mul_f64 v[38:39], v[22:23], s[14:15]
	v_add_f64 v[54:55], v[2:3], v[16:17]
	v_mul_f64 v[2:3], v[14:15], s[14:15]
	v_fma_f64 v[10:11], v[22:23], s[14:15], v[18:19]
	v_fma_f64 v[22:23], v[44:45], s[20:21], v[20:21]
	v_fma_f64 v[20:21], v[24:25], s[0:1], -v[20:21]
	v_fma_f64 v[24:25], v[44:45], s[22:23], -v[52:53]
	v_fma_f64 v[18:19], v[36:37], s[18:19], -v[18:19]
	v_fma_f64 v[8:9], v[14:15], s[14:15], v[46:47]
	v_fma_f64 v[14:15], v[12:13], s[20:21], v[48:49]
	v_fma_f64 v[12:13], v[12:13], s[22:23], -v[42:43]
	v_fma_f64 v[42:43], v[40:41], s[18:19], -v[46:47]
	v_fma_f64 v[26:27], v[26:27], s[4:5], v[0:1]
	v_fma_f64 v[36:37], v[36:37], s[16:17], -v[38:39]
	v_fma_f64 v[16:17], v[16:17], s[4:5], v[54:55]
	v_fma_f64 v[38:39], v[50:51], s[0:1], -v[48:49]
	v_fma_f64 v[2:3], v[40:41], s[16:17], -v[2:3]
	v_fma_f64 v[22:23], v[6:7], s[24:25], v[22:23]
	v_fma_f64 v[20:21], v[6:7], s[24:25], v[20:21]
	;; [unrolled: 1-line block ×3, first 2 shown]
	v_mul_hi_u32 v40, 0x38e38e39, v32
	v_fma_f64 v[14:15], v[4:5], s[24:25], v[14:15]
	v_add_f64 v[10:11], v[10:11], v[26:27]
	v_add_f64 v[18:19], v[18:19], v[26:27]
	;; [unrolled: 1-line block ×4, first 2 shown]
	v_fma_f64 v[26:27], v[4:5], s[24:25], v[38:39]
	v_fma_f64 v[4:5], v[4:5], s[24:25], v[12:13]
	v_add_f64 v[12:13], v[42:43], v[16:17]
	v_add_f64 v[2:3], v[2:3], v[16:17]
	;; [unrolled: 1-line block ×4, first 2 shown]
	v_add_f64 v[38:39], v[24:25], -v[20:21]
	v_add_f64 v[20:21], v[20:21], v[24:25]
	v_add_f64 v[6:7], v[18:19], -v[6:7]
	v_add_f64 v[10:11], v[10:11], -v[22:23]
	v_lshrrev_b32_e32 v18, 1, v40
	v_add_f64 v[22:23], v[12:13], -v[4:5]
	v_add_f64 v[24:25], v[26:27], v[2:3]
	v_add_f64 v[26:27], v[2:3], -v[26:27]
	v_add_f64 v[40:41], v[4:5], v[12:13]
	v_lshl_add_u32 v18, v18, 3, v18
	v_add_f64 v[42:43], v[14:15], v[8:9]
	s_delay_alu instid0(VALU_DEP_2) | instskip(NEXT) | instid1(VALU_DEP_1)
	v_sub_nc_u32_e32 v18, v32, v18
	v_mul_u32_u24_e32 v32, 49, v18
	v_add_f64 v[18:19], v[8:9], -v[14:15]
	s_delay_alu instid0(VALU_DEP_2) | instskip(NEXT) | instid1(VALU_DEP_1)
	v_lshl_add_u32 v2, v32, 3, 0
	v_mad_u32_u24 v32, v35, 56, v2
	v_lshl_add_u32 v14, v35, 3, v2
	ds_store_2addr_b64 v32, v[0:1], v[16:17] offset1:1
	ds_store_2addr_b64 v32, v[36:37], v[38:39] offset0:2 offset1:3
	ds_store_2addr_b64 v32, v[20:21], v[6:7] offset0:4 offset1:5
	ds_store_b64 v32, v[10:11] offset:48
	v_mad_i32_i24 v15, 0xffffffd0, v35, v32
	s_waitcnt lgkmcnt(0)
	s_barrier
	buffer_gl0_inv
	ds_load_b64 v[12:13], v14
	ds_load_2addr_b64 v[4:7], v15 offset0:7 offset1:14
	ds_load_2addr_b64 v[0:3], v15 offset0:21 offset1:28
	;; [unrolled: 1-line block ×3, first 2 shown]
	s_waitcnt lgkmcnt(0)
	s_barrier
	buffer_gl0_inv
	ds_store_2addr_b64 v32, v[54:55], v[18:19] offset1:1
	ds_store_2addr_b64 v32, v[22:23], v[24:25] offset0:2 offset1:3
	ds_store_2addr_b64 v32, v[26:27], v[40:41] offset0:4 offset1:5
	ds_store_b64 v32, v[42:43] offset:48
	s_waitcnt lgkmcnt(0)
	s_barrier
	buffer_gl0_inv
	s_and_saveexec_b32 s26, vcc_lo
	s_cbranch_execz .LBB0_14
; %bb.13:
	v_mul_u32_u24_e32 v16, 6, v35
	v_lshlrev_b64 v[28:29], 4, v[28:29]
	s_delay_alu instid0(VALU_DEP_2)
	v_lshlrev_b32_e32 v32, 4, v16
	s_clause 0x5
	global_load_b128 v[16:19], v32, s[8:9] offset:16
	global_load_b128 v[20:23], v32, s[8:9] offset:64
	global_load_b128 v[24:27], v32, s[8:9]
	global_load_b128 v[35:38], v32, s[8:9] offset:80
	global_load_b128 v[39:42], v32, s[8:9] offset:48
	;; [unrolled: 1-line block ×3, first 2 shown]
	s_waitcnt vmcnt(5)
	v_mul_f64 v[47:48], v[6:7], v[18:19]
	s_waitcnt vmcnt(4)
	v_mul_f64 v[49:50], v[8:9], v[22:23]
	;; [unrolled: 2-line block ×4, first 2 shown]
	v_mul_f64 v[55:56], v[6:7], v[16:17]
	v_mul_f64 v[57:58], v[8:9], v[20:21]
	;; [unrolled: 1-line block ×4, first 2 shown]
	ds_load_2addr_b64 v[4:7], v15 offset0:7 offset1:14
	ds_load_2addr_b64 v[8:11], v15 offset0:35 offset1:42
	s_waitcnt vmcnt(1)
	v_mul_f64 v[63:64], v[2:3], v[39:40]
	s_waitcnt vmcnt(0)
	v_mul_f64 v[65:66], v[0:1], v[43:44]
	v_mul_f64 v[67:68], v[0:1], v[45:46]
	;; [unrolled: 1-line block ×3, first 2 shown]
	ds_load_2addr_b64 v[0:3], v15 offset0:21 offset1:28
	s_waitcnt lgkmcnt(2)
	v_fma_f64 v[16:17], v[6:7], v[16:17], -v[47:48]
	s_waitcnt lgkmcnt(1)
	v_fma_f64 v[20:21], v[8:9], v[20:21], -v[49:50]
	v_fma_f64 v[24:25], v[4:5], v[24:25], -v[51:52]
	;; [unrolled: 1-line block ×3, first 2 shown]
	v_fma_f64 v[6:7], v[6:7], v[18:19], v[55:56]
	v_fma_f64 v[8:9], v[8:9], v[22:23], v[57:58]
	;; [unrolled: 1-line block ×4, first 2 shown]
	ds_load_b64 v[51:52], v14
	s_waitcnt lgkmcnt(1)
	v_fma_f64 v[18:19], v[2:3], v[41:42], v[63:64]
	v_fma_f64 v[22:23], v[0:1], v[45:46], v[65:66]
	v_fma_f64 v[0:1], v[0:1], v[43:44], -v[67:68]
	v_fma_f64 v[2:3], v[2:3], v[39:40], -v[69:70]
	v_add_f64 v[26:27], v[16:17], v[20:21]
	v_add_f64 v[37:38], v[24:25], v[35:36]
	;; [unrolled: 1-line block ×3, first 2 shown]
	v_add_f64 v[6:7], v[6:7], -v[8:9]
	v_add_f64 v[41:42], v[4:5], v[10:11]
	v_add_f64 v[4:5], v[4:5], -v[10:11]
	v_add_f64 v[43:44], v[18:19], -v[22:23]
	v_add_f64 v[18:19], v[18:19], v[22:23]
	v_add_f64 v[8:9], v[2:3], v[0:1]
	v_add_f64 v[0:1], v[2:3], -v[0:1]
	v_add_f64 v[2:3], v[16:17], -v[20:21]
	;; [unrolled: 1-line block ×3, first 2 shown]
	v_add_f64 v[10:11], v[26:27], v[37:38]
	v_add_f64 v[20:21], v[39:40], v[41:42]
	v_add_f64 v[45:46], v[6:7], -v[4:5]
	v_add_f64 v[22:23], v[43:44], -v[6:7]
	;; [unrolled: 1-line block ×4, first 2 shown]
	v_add_f64 v[6:7], v[43:44], v[6:7]
	v_add_f64 v[47:48], v[0:1], -v[2:3]
	v_add_f64 v[49:50], v[2:3], -v[15:16]
	;; [unrolled: 1-line block ×3, first 2 shown]
	v_add_f64 v[53:54], v[0:1], v[2:3]
	v_add_f64 v[57:58], v[15:16], -v[0:1]
	v_add_f64 v[10:11], v[8:9], v[10:11]
	v_add_f64 v[8:9], v[8:9], -v[26:27]
	v_add_f64 v[26:27], v[26:27], -v[37:38]
	v_add_f64 v[20:21], v[18:19], v[20:21]
	v_add_f64 v[17:18], v[18:19], -v[39:40]
	v_mul_f64 v[55:56], v[45:46], s[0:1]
	v_mul_f64 v[22:23], v[22:23], s[10:11]
	;; [unrolled: 1-line block ×4, first 2 shown]
	v_add_f64 v[4:5], v[6:7], v[4:5]
	v_mul_f64 v[47:48], v[47:48], s[10:11]
	v_add_f64 v[6:7], v[53:54], v[15:16]
	s_waitcnt lgkmcnt(0)
	v_add_f64 v[2:3], v[51:52], v[10:11]
	v_mul_f64 v[37:38], v[8:9], s[14:15]
	v_mul_f64 v[51:52], v[49:50], s[0:1]
	v_add_f64 v[0:1], v[12:13], v[20:21]
	v_add_f64 v[12:13], v[39:40], -v[41:42]
	v_mul_f64 v[39:40], v[17:18], s[14:15]
	v_fma_f64 v[14:15], v[43:44], s[20:21], v[22:23]
	v_fma_f64 v[16:17], v[17:18], s[14:15], v[35:36]
	;; [unrolled: 1-line block ×3, first 2 shown]
	v_fma_f64 v[24:25], v[26:27], s[18:19], -v[24:25]
	v_fma_f64 v[18:19], v[43:44], s[22:23], -v[55:56]
	;; [unrolled: 1-line block ×4, first 2 shown]
	v_mul_lo_u32 v49, s13, v30
	v_mul_lo_u32 v50, s12, v31
	v_mad_u64_u32 v[31:32], null, s12, v30, 0
	s_delay_alu instid0(VALU_DEP_1) | instskip(NEXT) | instid1(VALU_DEP_1)
	v_add3_u32 v32, v32, v50, v49
	v_lshlrev_b64 v[30:31], 4, v[31:32]
	s_delay_alu instid0(VALU_DEP_1)
	v_add_co_u32 v32, vcc_lo, s6, v30
	v_fma_f64 v[10:11], v[10:11], s[4:5], v[2:3]
	v_fma_f64 v[26:27], v[26:27], s[16:17], -v[37:38]
	v_fma_f64 v[37:38], v[57:58], s[20:21], v[47:48]
	v_fma_f64 v[41:42], v[57:58], s[22:23], -v[51:52]
	;; [unrolled: 2-line block ×3, first 2 shown]
	v_fma_f64 v[12:13], v[12:13], s[16:17], -v[39:40]
	v_fma_f64 v[39:40], v[4:5], s[24:25], v[14:15]
	v_fma_f64 v[45:46], v[4:5], s[24:25], v[18:19]
	;; [unrolled: 1-line block ×4, first 2 shown]
	v_add_f64 v[8:9], v[8:9], v[10:11]
	v_add_f64 v[22:23], v[24:25], v[10:11]
	v_fma_f64 v[37:38], v[6:7], s[24:25], v[37:38]
	v_fma_f64 v[41:42], v[6:7], s[24:25], v[41:42]
	v_add_f64 v[47:48], v[16:17], v[20:21]
	v_add_f64 v[35:36], v[35:36], v[20:21]
	;; [unrolled: 1-line block ×4, first 2 shown]
	v_add_f64 v[26:27], v[8:9], -v[39:40]
	v_add_f64 v[10:11], v[45:46], v[22:23]
	v_add_f64 v[22:23], v[22:23], -v[45:46]
	v_add_f64 v[6:7], v[39:40], v[8:9]
	v_add_f64 v[24:25], v[37:38], v[47:48]
	;; [unrolled: 1-line block ×3, first 2 shown]
	v_add_f64 v[14:15], v[18:19], -v[4:5]
	v_add_f64 v[18:19], v[4:5], v[18:19]
	v_add_f64 v[16:17], v[12:13], -v[43:44]
	v_add_f64 v[12:13], v[43:44], v[12:13]
	v_add_f64 v[8:9], v[35:36], -v[41:42]
	v_add_f64 v[4:5], v[47:48], -v[37:38]
	v_add_co_ci_u32_e32 v35, vcc_lo, s7, v31, vcc_lo
	v_lshlrev_b64 v[30:31], 4, v[33:34]
	v_add_co_u32 v28, vcc_lo, v32, v28
	s_delay_alu instid0(VALU_DEP_3) | instskip(NEXT) | instid1(VALU_DEP_2)
	v_add_co_ci_u32_e32 v29, vcc_lo, v35, v29, vcc_lo
	v_add_co_u32 v28, vcc_lo, v28, v30
	s_delay_alu instid0(VALU_DEP_2)
	v_add_co_ci_u32_e32 v29, vcc_lo, v29, v31, vcc_lo
	s_clause 0x6
	global_store_b128 v[28:29], v[0:3], off
	global_store_b128 v[28:29], v[24:27], off offset:112
	global_store_b128 v[28:29], v[20:23], off offset:224
	;; [unrolled: 1-line block ×6, first 2 shown]
.LBB0_14:
	s_nop 0
	s_sendmsg sendmsg(MSG_DEALLOC_VGPRS)
	s_endpgm
	.section	.rodata,"a",@progbits
	.p2align	6, 0x0
	.amdhsa_kernel fft_rtc_back_len49_factors_7_7_wgs_63_tpt_7_halfLds_dp_op_CI_CI_unitstride_sbrr_dirReg
		.amdhsa_group_segment_fixed_size 0
		.amdhsa_private_segment_fixed_size 0
		.amdhsa_kernarg_size 104
		.amdhsa_user_sgpr_count 15
		.amdhsa_user_sgpr_dispatch_ptr 0
		.amdhsa_user_sgpr_queue_ptr 0
		.amdhsa_user_sgpr_kernarg_segment_ptr 1
		.amdhsa_user_sgpr_dispatch_id 0
		.amdhsa_user_sgpr_private_segment_size 0
		.amdhsa_wavefront_size32 1
		.amdhsa_uses_dynamic_stack 0
		.amdhsa_enable_private_segment 0
		.amdhsa_system_sgpr_workgroup_id_x 1
		.amdhsa_system_sgpr_workgroup_id_y 0
		.amdhsa_system_sgpr_workgroup_id_z 0
		.amdhsa_system_sgpr_workgroup_info 0
		.amdhsa_system_vgpr_workitem_id 0
		.amdhsa_next_free_vgpr 71
		.amdhsa_next_free_sgpr 27
		.amdhsa_reserve_vcc 1
		.amdhsa_float_round_mode_32 0
		.amdhsa_float_round_mode_16_64 0
		.amdhsa_float_denorm_mode_32 3
		.amdhsa_float_denorm_mode_16_64 3
		.amdhsa_dx10_clamp 1
		.amdhsa_ieee_mode 1
		.amdhsa_fp16_overflow 0
		.amdhsa_workgroup_processor_mode 1
		.amdhsa_memory_ordered 1
		.amdhsa_forward_progress 0
		.amdhsa_shared_vgpr_count 0
		.amdhsa_exception_fp_ieee_invalid_op 0
		.amdhsa_exception_fp_denorm_src 0
		.amdhsa_exception_fp_ieee_div_zero 0
		.amdhsa_exception_fp_ieee_overflow 0
		.amdhsa_exception_fp_ieee_underflow 0
		.amdhsa_exception_fp_ieee_inexact 0
		.amdhsa_exception_int_div_zero 0
	.end_amdhsa_kernel
	.text
.Lfunc_end0:
	.size	fft_rtc_back_len49_factors_7_7_wgs_63_tpt_7_halfLds_dp_op_CI_CI_unitstride_sbrr_dirReg, .Lfunc_end0-fft_rtc_back_len49_factors_7_7_wgs_63_tpt_7_halfLds_dp_op_CI_CI_unitstride_sbrr_dirReg
                                        ; -- End function
	.section	.AMDGPU.csdata,"",@progbits
; Kernel info:
; codeLenInByte = 3808
; NumSgprs: 29
; NumVgprs: 71
; ScratchSize: 0
; MemoryBound: 1
; FloatMode: 240
; IeeeMode: 1
; LDSByteSize: 0 bytes/workgroup (compile time only)
; SGPRBlocks: 3
; VGPRBlocks: 8
; NumSGPRsForWavesPerEU: 29
; NumVGPRsForWavesPerEU: 71
; Occupancy: 16
; WaveLimiterHint : 1
; COMPUTE_PGM_RSRC2:SCRATCH_EN: 0
; COMPUTE_PGM_RSRC2:USER_SGPR: 15
; COMPUTE_PGM_RSRC2:TRAP_HANDLER: 0
; COMPUTE_PGM_RSRC2:TGID_X_EN: 1
; COMPUTE_PGM_RSRC2:TGID_Y_EN: 0
; COMPUTE_PGM_RSRC2:TGID_Z_EN: 0
; COMPUTE_PGM_RSRC2:TIDIG_COMP_CNT: 0
	.text
	.p2alignl 7, 3214868480
	.fill 96, 4, 3214868480
	.type	__hip_cuid_e70915aea4e6b577,@object ; @__hip_cuid_e70915aea4e6b577
	.section	.bss,"aw",@nobits
	.globl	__hip_cuid_e70915aea4e6b577
__hip_cuid_e70915aea4e6b577:
	.byte	0                               ; 0x0
	.size	__hip_cuid_e70915aea4e6b577, 1

	.ident	"AMD clang version 19.0.0git (https://github.com/RadeonOpenCompute/llvm-project roc-6.4.0 25133 c7fe45cf4b819c5991fe208aaa96edf142730f1d)"
	.section	".note.GNU-stack","",@progbits
	.addrsig
	.addrsig_sym __hip_cuid_e70915aea4e6b577
	.amdgpu_metadata
---
amdhsa.kernels:
  - .args:
      - .actual_access:  read_only
        .address_space:  global
        .offset:         0
        .size:           8
        .value_kind:     global_buffer
      - .offset:         8
        .size:           8
        .value_kind:     by_value
      - .actual_access:  read_only
        .address_space:  global
        .offset:         16
        .size:           8
        .value_kind:     global_buffer
      - .actual_access:  read_only
        .address_space:  global
        .offset:         24
        .size:           8
        .value_kind:     global_buffer
      - .actual_access:  read_only
        .address_space:  global
        .offset:         32
        .size:           8
        .value_kind:     global_buffer
      - .offset:         40
        .size:           8
        .value_kind:     by_value
      - .actual_access:  read_only
        .address_space:  global
        .offset:         48
        .size:           8
        .value_kind:     global_buffer
      - .actual_access:  read_only
        .address_space:  global
        .offset:         56
        .size:           8
        .value_kind:     global_buffer
      - .offset:         64
        .size:           4
        .value_kind:     by_value
      - .actual_access:  read_only
        .address_space:  global
        .offset:         72
        .size:           8
        .value_kind:     global_buffer
      - .actual_access:  read_only
        .address_space:  global
        .offset:         80
        .size:           8
        .value_kind:     global_buffer
      - .actual_access:  read_only
        .address_space:  global
        .offset:         88
        .size:           8
        .value_kind:     global_buffer
      - .actual_access:  write_only
        .address_space:  global
        .offset:         96
        .size:           8
        .value_kind:     global_buffer
    .group_segment_fixed_size: 0
    .kernarg_segment_align: 8
    .kernarg_segment_size: 104
    .language:       OpenCL C
    .language_version:
      - 2
      - 0
    .max_flat_workgroup_size: 63
    .name:           fft_rtc_back_len49_factors_7_7_wgs_63_tpt_7_halfLds_dp_op_CI_CI_unitstride_sbrr_dirReg
    .private_segment_fixed_size: 0
    .sgpr_count:     29
    .sgpr_spill_count: 0
    .symbol:         fft_rtc_back_len49_factors_7_7_wgs_63_tpt_7_halfLds_dp_op_CI_CI_unitstride_sbrr_dirReg.kd
    .uniform_work_group_size: 1
    .uses_dynamic_stack: false
    .vgpr_count:     71
    .vgpr_spill_count: 0
    .wavefront_size: 32
    .workgroup_processor_mode: 1
amdhsa.target:   amdgcn-amd-amdhsa--gfx1100
amdhsa.version:
  - 1
  - 2
...

	.end_amdgpu_metadata
